;; amdgpu-corpus repo=ROCm/rocFFT kind=compiled arch=gfx906 opt=O3
	.text
	.amdgcn_target "amdgcn-amd-amdhsa--gfx906"
	.amdhsa_code_object_version 6
	.protected	fft_rtc_back_len800_factors_16_5_10_wgs_160_tpt_160_halfLds_dp_op_CI_CI_unitstride_sbrr_R2C_dirReg ; -- Begin function fft_rtc_back_len800_factors_16_5_10_wgs_160_tpt_160_halfLds_dp_op_CI_CI_unitstride_sbrr_R2C_dirReg
	.globl	fft_rtc_back_len800_factors_16_5_10_wgs_160_tpt_160_halfLds_dp_op_CI_CI_unitstride_sbrr_R2C_dirReg
	.p2align	8
	.type	fft_rtc_back_len800_factors_16_5_10_wgs_160_tpt_160_halfLds_dp_op_CI_CI_unitstride_sbrr_R2C_dirReg,@function
fft_rtc_back_len800_factors_16_5_10_wgs_160_tpt_160_halfLds_dp_op_CI_CI_unitstride_sbrr_R2C_dirReg: ; @fft_rtc_back_len800_factors_16_5_10_wgs_160_tpt_160_halfLds_dp_op_CI_CI_unitstride_sbrr_R2C_dirReg
; %bb.0:
	s_load_dwordx4 s[8:11], s[4:5], 0x58
	s_load_dwordx4 s[12:15], s[4:5], 0x0
	;; [unrolled: 1-line block ×3, first 2 shown]
	v_mul_u32_u24_e32 v1, 0x19a, v0
	v_add_u32_sdwa v5, s6, v1 dst_sel:DWORD dst_unused:UNUSED_PAD src0_sel:DWORD src1_sel:WORD_1
	v_mov_b32_e32 v3, 0
	s_waitcnt lgkmcnt(0)
	v_cmp_lt_u64_e64 s[0:1], s[14:15], 2
	v_mov_b32_e32 v1, 0
	v_mov_b32_e32 v6, v3
	s_and_b64 vcc, exec, s[0:1]
	v_mov_b32_e32 v2, 0
	s_cbranch_vccnz .LBB0_8
; %bb.1:
	s_load_dwordx2 s[0:1], s[4:5], 0x10
	s_add_u32 s2, s18, 8
	s_addc_u32 s3, s19, 0
	s_add_u32 s6, s16, 8
	v_mov_b32_e32 v1, 0
	s_addc_u32 s7, s17, 0
	v_mov_b32_e32 v2, 0
	s_waitcnt lgkmcnt(0)
	s_add_u32 s20, s0, 8
	v_mov_b32_e32 v41, v2
	s_addc_u32 s21, s1, 0
	s_mov_b64 s[22:23], 1
	v_mov_b32_e32 v40, v1
.LBB0_2:                                ; =>This Inner Loop Header: Depth=1
	s_load_dwordx2 s[24:25], s[20:21], 0x0
                                        ; implicit-def: $vgpr42_vgpr43
	s_waitcnt lgkmcnt(0)
	v_or_b32_e32 v4, s25, v6
	v_cmp_ne_u64_e32 vcc, 0, v[3:4]
	s_and_saveexec_b64 s[0:1], vcc
	s_xor_b64 s[26:27], exec, s[0:1]
	s_cbranch_execz .LBB0_4
; %bb.3:                                ;   in Loop: Header=BB0_2 Depth=1
	v_cvt_f32_u32_e32 v4, s24
	v_cvt_f32_u32_e32 v7, s25
	s_sub_u32 s0, 0, s24
	s_subb_u32 s1, 0, s25
	v_mac_f32_e32 v4, 0x4f800000, v7
	v_rcp_f32_e32 v4, v4
	v_mul_f32_e32 v4, 0x5f7ffffc, v4
	v_mul_f32_e32 v7, 0x2f800000, v4
	v_trunc_f32_e32 v7, v7
	v_mac_f32_e32 v4, 0xcf800000, v7
	v_cvt_u32_f32_e32 v7, v7
	v_cvt_u32_f32_e32 v4, v4
	v_mul_lo_u32 v8, s0, v7
	v_mul_hi_u32 v9, s0, v4
	v_mul_lo_u32 v11, s1, v4
	v_mul_lo_u32 v10, s0, v4
	v_add_u32_e32 v8, v9, v8
	v_add_u32_e32 v8, v8, v11
	v_mul_hi_u32 v9, v4, v10
	v_mul_lo_u32 v11, v4, v8
	v_mul_hi_u32 v13, v4, v8
	v_mul_hi_u32 v12, v7, v10
	v_mul_lo_u32 v10, v7, v10
	v_mul_hi_u32 v14, v7, v8
	v_add_co_u32_e32 v9, vcc, v9, v11
	v_addc_co_u32_e32 v11, vcc, 0, v13, vcc
	v_mul_lo_u32 v8, v7, v8
	v_add_co_u32_e32 v9, vcc, v9, v10
	v_addc_co_u32_e32 v9, vcc, v11, v12, vcc
	v_addc_co_u32_e32 v10, vcc, 0, v14, vcc
	v_add_co_u32_e32 v8, vcc, v9, v8
	v_addc_co_u32_e32 v9, vcc, 0, v10, vcc
	v_add_co_u32_e32 v4, vcc, v4, v8
	v_addc_co_u32_e32 v7, vcc, v7, v9, vcc
	v_mul_lo_u32 v8, s0, v7
	v_mul_hi_u32 v9, s0, v4
	v_mul_lo_u32 v10, s1, v4
	v_mul_lo_u32 v11, s0, v4
	v_add_u32_e32 v8, v9, v8
	v_add_u32_e32 v8, v8, v10
	v_mul_lo_u32 v12, v4, v8
	v_mul_hi_u32 v13, v4, v11
	v_mul_hi_u32 v14, v4, v8
	v_mul_hi_u32 v10, v7, v11
	v_mul_lo_u32 v11, v7, v11
	v_mul_hi_u32 v9, v7, v8
	v_add_co_u32_e32 v12, vcc, v13, v12
	v_addc_co_u32_e32 v13, vcc, 0, v14, vcc
	v_mul_lo_u32 v8, v7, v8
	v_add_co_u32_e32 v11, vcc, v12, v11
	v_addc_co_u32_e32 v10, vcc, v13, v10, vcc
	v_addc_co_u32_e32 v9, vcc, 0, v9, vcc
	v_add_co_u32_e32 v8, vcc, v10, v8
	v_addc_co_u32_e32 v9, vcc, 0, v9, vcc
	v_add_co_u32_e32 v4, vcc, v4, v8
	v_addc_co_u32_e32 v9, vcc, v7, v9, vcc
	v_mad_u64_u32 v[7:8], s[0:1], v5, v9, 0
	v_mul_hi_u32 v10, v5, v4
	v_add_co_u32_e32 v11, vcc, v10, v7
	v_addc_co_u32_e32 v12, vcc, 0, v8, vcc
	v_mad_u64_u32 v[7:8], s[0:1], v6, v4, 0
	v_mad_u64_u32 v[9:10], s[0:1], v6, v9, 0
	v_add_co_u32_e32 v4, vcc, v11, v7
	v_addc_co_u32_e32 v4, vcc, v12, v8, vcc
	v_addc_co_u32_e32 v7, vcc, 0, v10, vcc
	v_add_co_u32_e32 v4, vcc, v4, v9
	v_addc_co_u32_e32 v9, vcc, 0, v7, vcc
	v_mul_lo_u32 v10, s25, v4
	v_mul_lo_u32 v11, s24, v9
	v_mad_u64_u32 v[7:8], s[0:1], s24, v4, 0
	v_add3_u32 v8, v8, v11, v10
	v_sub_u32_e32 v10, v6, v8
	v_mov_b32_e32 v11, s25
	v_sub_co_u32_e32 v7, vcc, v5, v7
	v_subb_co_u32_e64 v10, s[0:1], v10, v11, vcc
	v_subrev_co_u32_e64 v11, s[0:1], s24, v7
	v_subbrev_co_u32_e64 v10, s[0:1], 0, v10, s[0:1]
	v_cmp_le_u32_e64 s[0:1], s25, v10
	v_cndmask_b32_e64 v12, 0, -1, s[0:1]
	v_cmp_le_u32_e64 s[0:1], s24, v11
	v_cndmask_b32_e64 v11, 0, -1, s[0:1]
	v_cmp_eq_u32_e64 s[0:1], s25, v10
	v_cndmask_b32_e64 v10, v12, v11, s[0:1]
	v_add_co_u32_e64 v11, s[0:1], 2, v4
	v_addc_co_u32_e64 v12, s[0:1], 0, v9, s[0:1]
	v_add_co_u32_e64 v13, s[0:1], 1, v4
	v_addc_co_u32_e64 v14, s[0:1], 0, v9, s[0:1]
	v_subb_co_u32_e32 v8, vcc, v6, v8, vcc
	v_cmp_ne_u32_e64 s[0:1], 0, v10
	v_cmp_le_u32_e32 vcc, s25, v8
	v_cndmask_b32_e64 v10, v14, v12, s[0:1]
	v_cndmask_b32_e64 v12, 0, -1, vcc
	v_cmp_le_u32_e32 vcc, s24, v7
	v_cndmask_b32_e64 v7, 0, -1, vcc
	v_cmp_eq_u32_e32 vcc, s25, v8
	v_cndmask_b32_e32 v7, v12, v7, vcc
	v_cmp_ne_u32_e32 vcc, 0, v7
	v_cndmask_b32_e64 v7, v13, v11, s[0:1]
	v_cndmask_b32_e32 v43, v9, v10, vcc
	v_cndmask_b32_e32 v42, v4, v7, vcc
.LBB0_4:                                ;   in Loop: Header=BB0_2 Depth=1
	s_andn2_saveexec_b64 s[0:1], s[26:27]
	s_cbranch_execz .LBB0_6
; %bb.5:                                ;   in Loop: Header=BB0_2 Depth=1
	v_cvt_f32_u32_e32 v4, s24
	s_sub_i32 s26, 0, s24
	v_mov_b32_e32 v43, v3
	v_rcp_iflag_f32_e32 v4, v4
	v_mul_f32_e32 v4, 0x4f7ffffe, v4
	v_cvt_u32_f32_e32 v4, v4
	v_mul_lo_u32 v7, s26, v4
	v_mul_hi_u32 v7, v4, v7
	v_add_u32_e32 v4, v4, v7
	v_mul_hi_u32 v4, v5, v4
	v_mul_lo_u32 v7, v4, s24
	v_add_u32_e32 v8, 1, v4
	v_sub_u32_e32 v7, v5, v7
	v_subrev_u32_e32 v9, s24, v7
	v_cmp_le_u32_e32 vcc, s24, v7
	v_cndmask_b32_e32 v7, v7, v9, vcc
	v_cndmask_b32_e32 v4, v4, v8, vcc
	v_add_u32_e32 v8, 1, v4
	v_cmp_le_u32_e32 vcc, s24, v7
	v_cndmask_b32_e32 v42, v4, v8, vcc
.LBB0_6:                                ;   in Loop: Header=BB0_2 Depth=1
	s_or_b64 exec, exec, s[0:1]
	v_mul_lo_u32 v4, v43, s24
	v_mul_lo_u32 v9, v42, s25
	v_mad_u64_u32 v[7:8], s[0:1], v42, s24, 0
	s_load_dwordx2 s[0:1], s[6:7], 0x0
	s_load_dwordx2 s[24:25], s[2:3], 0x0
	v_add3_u32 v4, v8, v9, v4
	v_sub_co_u32_e32 v5, vcc, v5, v7
	v_subb_co_u32_e32 v4, vcc, v6, v4, vcc
	s_waitcnt lgkmcnt(0)
	v_mul_lo_u32 v6, s0, v4
	v_mul_lo_u32 v7, s1, v5
	v_mad_u64_u32 v[1:2], s[0:1], s0, v5, v[1:2]
	v_mul_lo_u32 v4, s24, v4
	v_mul_lo_u32 v8, s25, v5
	v_mad_u64_u32 v[40:41], s[0:1], s24, v5, v[40:41]
	s_add_u32 s22, s22, 1
	s_addc_u32 s23, s23, 0
	s_add_u32 s2, s2, 8
	v_add3_u32 v41, v8, v41, v4
	s_addc_u32 s3, s3, 0
	v_mov_b32_e32 v4, s14
	s_add_u32 s6, s6, 8
	v_mov_b32_e32 v5, s15
	s_addc_u32 s7, s7, 0
	v_cmp_ge_u64_e32 vcc, s[22:23], v[4:5]
	s_add_u32 s20, s20, 8
	v_add3_u32 v2, v7, v2, v6
	s_addc_u32 s21, s21, 0
	s_cbranch_vccnz .LBB0_9
; %bb.7:                                ;   in Loop: Header=BB0_2 Depth=1
	v_mov_b32_e32 v5, v42
	v_mov_b32_e32 v6, v43
	s_branch .LBB0_2
.LBB0_8:
	v_mov_b32_e32 v41, v2
	v_mov_b32_e32 v43, v6
	;; [unrolled: 1-line block ×4, first 2 shown]
.LBB0_9:
	s_load_dwordx2 s[4:5], s[4:5], 0x28
	s_lshl_b64 s[6:7], s[14:15], 3
	s_add_u32 s2, s18, s6
	s_addc_u32 s3, s19, s7
                                        ; implicit-def: $vgpr44
	s_waitcnt lgkmcnt(0)
	v_cmp_gt_u64_e64 s[0:1], s[4:5], v[42:43]
	v_cmp_le_u64_e32 vcc, s[4:5], v[42:43]
	s_and_saveexec_b64 s[4:5], vcc
	s_xor_b64 s[4:5], exec, s[4:5]
; %bb.10:
	s_mov_b32 s14, 0x199999a
	v_mul_hi_u32 v1, v0, s14
	v_mul_u32_u24_e32 v1, 0xa0, v1
	v_sub_u32_e32 v44, v0, v1
                                        ; implicit-def: $vgpr0
                                        ; implicit-def: $vgpr1_vgpr2
; %bb.11:
	s_andn2_saveexec_b64 s[4:5], s[4:5]
	s_cbranch_execz .LBB0_13
; %bb.12:
	s_add_u32 s6, s16, s6
	s_addc_u32 s7, s17, s7
	s_load_dwordx2 s[6:7], s[6:7], 0x0
	s_mov_b32 s14, 0x199999a
	v_mul_hi_u32 v5, v0, s14
	s_waitcnt lgkmcnt(0)
	v_mul_lo_u32 v6, s7, v42
	v_mul_lo_u32 v7, s6, v43
	v_mad_u64_u32 v[3:4], s[6:7], s6, v42, 0
	v_mul_u32_u24_e32 v5, 0xa0, v5
	v_sub_u32_e32 v44, v0, v5
	v_add3_u32 v4, v4, v7, v6
	v_lshlrev_b64 v[3:4], 4, v[3:4]
	v_mov_b32_e32 v0, s9
	v_add_co_u32_e32 v3, vcc, s8, v3
	v_addc_co_u32_e32 v4, vcc, v0, v4, vcc
	v_lshlrev_b64 v[0:1], 4, v[1:2]
	v_lshlrev_b32_e32 v24, 4, v44
	v_add_co_u32_e32 v0, vcc, v3, v0
	v_addc_co_u32_e32 v1, vcc, v4, v1, vcc
	v_add_co_u32_e32 v8, vcc, v0, v24
	v_addc_co_u32_e32 v9, vcc, 0, v1, vcc
	;; [unrolled: 2-line block ×3, first 2 shown]
	v_add_co_u32_e32 v22, vcc, 0x2000, v8
	global_load_dwordx4 v[0:3], v[8:9], off
	global_load_dwordx4 v[4:7], v[8:9], off offset:2560
	v_addc_co_u32_e32 v23, vcc, 0, v9, vcc
	global_load_dwordx4 v[8:11], v[20:21], off offset:1024
	global_load_dwordx4 v[12:15], v[20:21], off offset:3584
	;; [unrolled: 1-line block ×3, first 2 shown]
	v_add_u32_e32 v20, 0, v24
	s_waitcnt vmcnt(4)
	ds_write_b128 v20, v[0:3]
	s_waitcnt vmcnt(3)
	ds_write_b128 v20, v[4:7] offset:2560
	s_waitcnt vmcnt(2)
	ds_write_b128 v20, v[8:11] offset:5120
	;; [unrolled: 2-line block ×4, first 2 shown]
.LBB0_13:
	s_or_b64 exec, exec, s[4:5]
	v_lshl_add_u32 v85, v44, 4, 0
	s_waitcnt lgkmcnt(0)
	s_barrier
	ds_read_b128 v[0:3], v85 offset:6400
	ds_read_b128 v[4:7], v85
	ds_read_b128 v[8:11], v85 offset:800
	ds_read_b128 v[12:15], v85 offset:7200
	ds_read_b128 v[16:19], v85 offset:9600
	ds_read_b128 v[20:23], v85 offset:3200
	s_waitcnt lgkmcnt(4)
	v_add_f64 v[57:58], v[4:5], -v[0:1]
	v_add_f64 v[59:60], v[6:7], -v[2:3]
	ds_read_b128 v[0:3], v85 offset:4000
	ds_read_b128 v[24:27], v85 offset:10400
	s_waitcnt lgkmcnt(4)
	v_add_f64 v[12:13], v[8:9], -v[12:13]
	s_waitcnt lgkmcnt(2)
	v_add_f64 v[61:62], v[20:21], -v[16:17]
	v_add_f64 v[63:64], v[22:23], -v[18:19]
	ds_read_b128 v[16:19], v85 offset:8000
	ds_read_b128 v[28:31], v85 offset:1600
	ds_read_b128 v[49:52], v85 offset:2400
	ds_read_b128 v[32:35], v85 offset:8800
	ds_read_b128 v[36:39], v85 offset:11200
	ds_read_b128 v[53:56], v85 offset:4800
	s_waitcnt lgkmcnt(4)
	v_add_f64 v[65:66], v[28:29], -v[16:17]
	v_add_f64 v[67:68], v[30:31], -v[18:19]
	ds_read_b128 v[16:19], v85 offset:5600
	ds_read_b128 v[45:48], v85 offset:12000
	v_add_f64 v[26:27], v[2:3], -v[26:27]
	s_waitcnt lgkmcnt(2)
	v_add_f64 v[69:70], v[53:54], -v[36:37]
	v_add_f64 v[38:39], v[55:56], -v[38:39]
	;; [unrolled: 1-line block ×3, first 2 shown]
	s_waitcnt lgkmcnt(0)
	v_add_f64 v[73:74], v[18:19], -v[47:48]
	v_add_f64 v[14:15], v[10:11], -v[14:15]
	v_add_f64 v[75:76], v[51:52], -v[34:35]
	v_add_f64 v[77:78], v[16:17], -v[45:46]
	v_add_f64 v[24:25], v[0:1], -v[24:25]
	v_add_f64 v[32:33], v[57:58], v[63:64]
	v_add_f64 v[79:80], v[65:66], v[38:39]
	;; [unrolled: 1-line block ×4, first 2 shown]
	v_add_f64 v[81:82], v[67:68], -v[69:70]
	v_add_f64 v[36:37], v[59:60], -v[61:62]
	;; [unrolled: 1-line block ×4, first 2 shown]
	v_fma_f64 v[4:5], v[4:5], 2.0, -v[57:58]
	v_fma_f64 v[6:7], v[6:7], 2.0, -v[59:60]
	v_fma_f64 v[20:21], v[20:21], 2.0, -v[61:62]
	v_fma_f64 v[47:48], v[57:58], 2.0, -v[32:33]
	v_fma_f64 v[57:58], v[65:66], 2.0, -v[79:80]
	v_fma_f64 v[61:62], v[12:13], 2.0, -v[34:35]
	v_fma_f64 v[88:89], v[71:72], 2.0, -v[83:84]
	v_fma_f64 v[90:91], v[67:68], 2.0, -v[81:82]
	v_fma_f64 v[59:60], v[59:60], 2.0, -v[36:37]
	v_fma_f64 v[92:93], v[75:76], 2.0, -v[86:87]
	v_fma_f64 v[94:95], v[14:15], 2.0, -v[45:46]
	s_mov_b32 s4, 0x667f3bcd
	s_mov_b32 s5, 0xbfe6a09e
	v_fma_f64 v[96:97], v[57:58], s[4:5], v[47:48]
	v_fma_f64 v[98:99], v[88:89], s[4:5], v[61:62]
	v_fma_f64 v[22:23], v[22:23], 2.0, -v[63:64]
	v_fma_f64 v[28:29], v[28:29], 2.0, -v[65:66]
	v_fma_f64 v[63:64], v[90:91], s[4:5], v[59:60]
	v_fma_f64 v[65:66], v[92:93], s[4:5], v[94:95]
	s_mov_b32 s7, 0x3fe6a09e
	s_mov_b32 s6, s4
	v_fma_f64 v[90:91], v[90:91], s[6:7], v[96:97]
	v_fma_f64 v[92:93], v[92:93], s[6:7], v[98:99]
	v_fma_f64 v[55:56], v[55:56], 2.0, -v[38:39]
	v_fma_f64 v[8:9], v[8:9], 2.0, -v[12:13]
	v_fma_f64 v[96:97], v[57:58], s[4:5], v[63:64]
	v_fma_f64 v[88:89], v[88:89], s[4:5], v[65:66]
	v_fma_f64 v[10:11], v[10:11], 2.0, -v[14:15]
	v_fma_f64 v[14:15], v[0:1], 2.0, -v[24:25]
	;; [unrolled: 1-line block ×4, first 2 shown]
	s_mov_b32 s14, 0xcf328d46
	s_mov_b32 s15, 0xbfed906b
	v_fma_f64 v[47:48], v[59:60], 2.0, -v[96:97]
	v_fma_f64 v[0:1], v[94:95], 2.0, -v[88:89]
	;; [unrolled: 1-line block ×5, first 2 shown]
	v_fma_f64 v[2:3], v[12:13], s[14:15], v[38:39]
	v_fma_f64 v[26:27], v[49:50], 2.0, -v[71:72]
	v_fma_f64 v[65:66], v[51:52], 2.0, -v[75:76]
	;; [unrolled: 1-line block ×3, first 2 shown]
	v_fma_f64 v[49:50], v[0:1], s[14:15], v[47:48]
	v_fma_f64 v[18:19], v[18:19], 2.0, -v[73:74]
	v_fma_f64 v[51:52], v[79:80], s[6:7], v[32:33]
	s_mov_b32 s8, 0xa6aea964
	s_mov_b32 s9, 0x3fd87de2
	;; [unrolled: 1-line block ×4, first 2 shown]
	v_fma_f64 v[0:1], v[0:1], s[8:9], v[2:3]
	v_fma_f64 v[2:3], v[12:13], s[18:19], v[49:50]
	;; [unrolled: 1-line block ×6, first 2 shown]
	v_add_f64 v[53:54], v[28:29], -v[53:54]
	v_add_f64 v[55:56], v[30:31], -v[55:56]
	;; [unrolled: 1-line block ×8, first 2 shown]
	v_fma_f64 v[71:72], v[79:80], s[4:5], v[61:62]
	v_fma_f64 v[14:15], v[28:29], 2.0, -v[53:54]
	v_add_f64 v[61:62], v[51:52], v[55:56]
	v_add_f64 v[69:70], v[57:58], -v[53:54]
	v_fma_f64 v[20:21], v[30:31], 2.0, -v[55:56]
	v_fma_f64 v[22:23], v[26:27], 2.0, -v[16:17]
	;; [unrolled: 1-line block ×7, first 2 shown]
	v_add_f64 v[77:78], v[59:60], v[18:19]
	v_add_f64 v[79:80], v[63:64], -v[16:17]
	v_fma_f64 v[81:82], v[86:87], s[6:7], v[67:68]
	v_fma_f64 v[83:84], v[83:84], s[4:5], v[73:74]
	s_mov_b32 s17, 0x3fed906b
	s_mov_b32 s16, s14
	v_fma_f64 v[12:13], v[92:93], s[8:9], v[90:91]
	v_fma_f64 v[94:95], v[88:89], s[8:9], v[96:97]
	v_add_f64 v[53:54], v[4:5], -v[14:15]
	v_add_f64 v[55:56], v[6:7], -v[20:21]
	;; [unrolled: 1-line block ×4, first 2 shown]
	v_fma_f64 v[14:15], v[77:78], s[6:7], v[61:62]
	v_fma_f64 v[16:17], v[79:80], s[6:7], v[69:70]
	;; [unrolled: 1-line block ×4, first 2 shown]
	v_fma_f64 v[65:66], v[4:5], 2.0, -v[53:54]
	v_fma_f64 v[67:68], v[6:7], 2.0, -v[55:56]
	;; [unrolled: 1-line block ×4, first 2 shown]
	v_fma_f64 v[28:29], v[88:89], s[16:17], v[12:13]
	v_fma_f64 v[30:31], v[92:93], s[14:15], v[94:95]
	;; [unrolled: 1-line block ×6, first 2 shown]
	v_add_f64 v[16:17], v[65:66], -v[4:5]
	v_add_f64 v[18:19], v[67:68], -v[6:7]
	v_fma_f64 v[4:5], v[90:91], 2.0, -v[28:29]
	v_fma_f64 v[6:7], v[96:97], 2.0, -v[30:31]
	;; [unrolled: 1-line block ×6, first 2 shown]
	v_cmp_gt_u32_e32 vcc, 50, v44
	s_barrier
	s_and_saveexec_b64 s[8:9], vcc
	s_cbranch_execz .LBB0_15
; %bb.14:
	v_fma_f64 v[69:70], v[57:58], 2.0, -v[69:70]
	v_fma_f64 v[57:58], v[63:64], 2.0, -v[79:80]
	;; [unrolled: 1-line block ×8, first 2 shown]
	v_add_f64 v[34:35], v[55:56], -v[73:74]
	v_fma_f64 v[63:64], v[57:58], s[4:5], v[69:70]
	v_add_f64 v[32:33], v[53:54], v[75:76]
	v_fma_f64 v[79:80], v[59:60], s[4:5], v[61:62]
	v_fma_f64 v[47:48], v[47:48], 2.0, -v[2:3]
	v_fma_f64 v[49:50], v[36:37], s[18:19], v[71:72]
	v_fma_f64 v[81:82], v[45:46], s[18:19], v[77:78]
	v_fma_f64 v[55:56], v[55:56], 2.0, -v[34:35]
	v_fma_f64 v[59:60], v[59:60], s[4:5], v[63:64]
	v_fma_f64 v[53:54], v[53:54], 2.0, -v[32:33]
	v_fma_f64 v[57:58], v[57:58], s[6:7], v[79:80]
	s_movk_i32 s4, 0xf0
	v_fma_f64 v[51:52], v[45:46], s[14:15], v[49:50]
	v_fma_f64 v[45:46], v[38:39], 2.0, -v[0:1]
	v_fma_f64 v[49:50], v[36:37], s[16:17], v[81:82]
	v_fma_f64 v[38:39], v[67:68], 2.0, -v[18:19]
	v_fma_f64 v[36:37], v[65:66], 2.0, -v[16:17]
	;; [unrolled: 1-line block ×4, first 2 shown]
	v_mad_u32_u24 v69, v44, s4, v85
	v_fma_f64 v[63:64], v[71:72], 2.0, -v[51:52]
	v_fma_f64 v[61:62], v[77:78], 2.0, -v[49:50]
	ds_write_b128 v69, v[36:39]
	ds_write_b128 v69, v[45:48] offset:16
	ds_write_b128 v69, v[65:68] offset:32
	;; [unrolled: 1-line block ×15, first 2 shown]
.LBB0_15:
	s_or_b64 exec, exec, s[8:9]
	v_and_b32_e32 v77, 15, v44
	v_lshlrev_b32_e32 v36, 6, v77
	s_load_dwordx2 s[4:5], s[2:3], 0x0
	s_waitcnt lgkmcnt(0)
	s_barrier
	global_load_dwordx4 v[20:23], v36, s[12:13]
	global_load_dwordx4 v[24:27], v36, s[12:13] offset:16
	global_load_dwordx4 v[28:31], v36, s[12:13] offset:32
	;; [unrolled: 1-line block ×3, first 2 shown]
	ds_read_b128 v[36:39], v85
	ds_read_b128 v[45:48], v85 offset:2560
	ds_read_b128 v[49:52], v85 offset:5120
	;; [unrolled: 1-line block ×4, first 2 shown]
	v_lshrrev_b32_e32 v69, 4, v44
	v_mul_u32_u24_e32 v78, 0x50, v69
	s_mov_b32 s8, 0x134454ff
	s_mov_b32 s9, 0xbfee6f0e
	s_mov_b32 s17, 0x3fee6f0e
	s_mov_b32 s16, s8
	s_mov_b32 s2, 0x4755a5e
	s_mov_b32 s3, 0xbfe2cf23
	s_mov_b32 s15, 0x3fe2cf23
	s_mov_b32 s14, s2
	s_mov_b32 s6, 0x372fe950
	s_mov_b32 s7, 0x3fd3c6ef
	s_movk_i32 s18, 0x50
	v_cmp_gt_u32_e32 vcc, s18, v44
	s_waitcnt vmcnt(0) lgkmcnt(0)
	s_barrier
	v_mul_f64 v[61:62], v[47:48], v[22:23]
	v_mul_f64 v[22:23], v[45:46], v[22:23]
	;; [unrolled: 1-line block ×8, first 2 shown]
	v_fma_f64 v[45:46], v[45:46], v[20:21], v[61:62]
	v_fma_f64 v[20:21], v[47:48], v[20:21], -v[22:23]
	v_fma_f64 v[22:23], v[49:50], v[24:25], v[63:64]
	v_fma_f64 v[24:25], v[51:52], v[24:25], -v[26:27]
	;; [unrolled: 2-line block ×3, first 2 shown]
	v_fma_f64 v[28:29], v[55:56], v[28:29], -v[30:31]
	v_fma_f64 v[30:31], v[57:58], v[32:33], v[34:35]
	v_add_f64 v[32:33], v[36:37], v[45:46]
	v_add_f64 v[63:64], v[38:39], v[20:21]
	v_add_f64 v[53:54], v[45:46], -v[22:23]
	v_add_f64 v[59:60], v[22:23], -v[45:46]
	v_add_f64 v[34:35], v[22:23], v[26:27]
	v_add_f64 v[73:74], v[20:21], v[47:48]
	;; [unrolled: 1-line block ×3, first 2 shown]
	v_add_f64 v[55:56], v[30:31], -v[26:27]
	v_add_f64 v[57:58], v[45:46], v[30:31]
	v_add_f64 v[49:50], v[20:21], -v[47:48]
	v_add_f64 v[51:52], v[24:25], -v[28:29]
	;; [unrolled: 1-line block ×8, first 2 shown]
	v_add_f64 v[22:23], v[32:33], v[22:23]
	v_fma_f64 v[32:33], v[34:35], -0.5, v[36:37]
	v_add_f64 v[34:35], v[53:54], v[55:56]
	v_fma_f64 v[36:37], v[57:58], -0.5, v[36:37]
	;; [unrolled: 2-line block ×3, first 2 shown]
	v_fma_f64 v[38:39], v[73:74], -0.5, v[38:39]
	v_add_f64 v[71:72], v[47:48], -v[28:29]
	v_add_f64 v[53:54], v[59:60], v[61:62]
	v_add_f64 v[59:60], v[20:21], v[75:76]
	;; [unrolled: 1-line block ×3, first 2 shown]
	v_fma_f64 v[22:23], v[49:50], s[8:9], v[32:33]
	v_fma_f64 v[26:27], v[49:50], s[16:17], v[32:33]
	;; [unrolled: 1-line block ×4, first 2 shown]
	v_add_f64 v[24:25], v[24:25], v[28:29]
	v_fma_f64 v[28:29], v[45:46], s[16:17], v[55:56]
	v_fma_f64 v[55:56], v[45:46], s[8:9], v[55:56]
	;; [unrolled: 1-line block ×4, first 2 shown]
	v_add_f64 v[57:58], v[69:70], v[71:72]
	v_add_f64 v[20:21], v[20:21], v[30:31]
	v_fma_f64 v[30:31], v[51:52], s[2:3], v[22:23]
	v_fma_f64 v[26:27], v[51:52], s[14:15], v[26:27]
	v_fma_f64 v[32:33], v[49:50], s[2:3], v[32:33]
	v_fma_f64 v[49:50], v[49:50], s[14:15], v[36:37]
	v_add_f64 v[22:23], v[24:25], v[47:48]
	v_fma_f64 v[47:48], v[67:68], s[14:15], v[28:29]
	v_fma_f64 v[51:52], v[45:46], s[14:15], v[61:62]
	;; [unrolled: 1-line block ×12, first 2 shown]
	v_or_b32_e32 v45, v78, v77
	v_lshl_add_u32 v45, v45, 4, 0
	ds_write_b128 v45, v[20:23]
	ds_write_b128 v45, v[24:27] offset:256
	ds_write_b128 v45, v[28:31] offset:512
	;; [unrolled: 1-line block ×4, first 2 shown]
	s_waitcnt lgkmcnt(0)
	s_barrier
	s_and_saveexec_b64 s[2:3], vcc
	s_cbranch_execz .LBB0_17
; %bb.16:
	ds_read_b128 v[20:23], v85
	ds_read_b128 v[24:27], v85 offset:1280
	ds_read_b128 v[28:31], v85 offset:2560
	;; [unrolled: 1-line block ×9, first 2 shown]
.LBB0_17:
	s_or_b64 exec, exec, s[2:3]
	s_waitcnt lgkmcnt(0)
	s_barrier
	s_and_saveexec_b64 s[6:7], vcc
	s_cbranch_execz .LBB0_19
; %bb.18:
	v_add_u32_e32 v45, 0xffffffb0, v44
	v_cndmask_b32_e32 v45, v45, v44, vcc
	v_mul_i32_i24_e32 v45, 9, v45
	v_mov_b32_e32 v46, 0
	v_lshlrev_b64 v[45:46], 4, v[45:46]
	v_mov_b32_e32 v47, s13
	v_add_co_u32_e64 v81, s[2:3], s12, v45
	v_addc_co_u32_e64 v82, s[2:3], v47, v46, s[2:3]
	global_load_dwordx4 v[45:48], v[81:82], off offset:1040
	global_load_dwordx4 v[49:52], v[81:82], off offset:1072
	;; [unrolled: 1-line block ×9, first 2 shown]
	s_mov_b32 s2, 0x134454ff
	s_mov_b32 s3, 0xbfee6f0e
	;; [unrolled: 1-line block ×15, first 2 shown]
	s_waitcnt vmcnt(8)
	v_mul_f64 v[81:82], v[28:29], v[47:48]
	s_waitcnt vmcnt(7)
	v_mul_f64 v[83:84], v[36:37], v[51:52]
	;; [unrolled: 2-line block ×4, first 2 shown]
	v_mul_f64 v[47:48], v[30:31], v[47:48]
	s_waitcnt vmcnt(4)
	v_mul_f64 v[90:91], v[34:35], v[63:64]
	s_waitcnt vmcnt(3)
	;; [unrolled: 2-line block ×4, first 2 shown]
	v_mul_f64 v[96:97], v[14:15], v[75:76]
	v_mul_f64 v[67:68], v[4:5], v[67:68]
	;; [unrolled: 1-line block ×8, first 2 shown]
	s_waitcnt vmcnt(0)
	v_mul_f64 v[98:99], v[26:27], v[79:80]
	v_mul_f64 v[79:80], v[24:25], v[79:80]
	v_fma_f64 v[30:31], v[30:31], v[45:46], -v[81:82]
	v_fma_f64 v[38:39], v[38:39], v[49:50], -v[83:84]
	;; [unrolled: 1-line block ×4, first 2 shown]
	v_fma_f64 v[28:29], v[28:29], v[45:46], v[47:48]
	v_fma_f64 v[32:33], v[32:33], v[61:62], v[90:91]
	;; [unrolled: 1-line block ×5, first 2 shown]
	v_fma_f64 v[6:7], v[6:7], v[65:66], -v[67:68]
	v_fma_f64 v[12:13], v[14:15], v[73:74], -v[75:76]
	;; [unrolled: 1-line block ×4, first 2 shown]
	v_fma_f64 v[16:17], v[16:17], v[53:54], v[55:56]
	v_fma_f64 v[36:37], v[36:37], v[49:50], v[51:52]
	;; [unrolled: 1-line block ×4, first 2 shown]
	v_fma_f64 v[2:3], v[26:27], v[77:78], -v[79:80]
	v_add_f64 v[26:27], v[30:31], -v[38:39]
	v_add_f64 v[47:48], v[18:19], -v[10:11]
	v_add_f64 v[49:50], v[38:39], v[10:11]
	v_add_f64 v[55:56], v[32:33], -v[4:5]
	v_add_f64 v[57:58], v[45:46], -v[0:1]
	v_add_f64 v[61:62], v[4:5], v[0:1]
	v_add_f64 v[69:70], v[6:7], v[12:13]
	v_add_f64 v[92:93], v[14:15], v[34:35]
	v_add_f64 v[63:64], v[14:15], -v[34:35]
	v_add_f64 v[65:66], v[14:15], -v[6:7]
	;; [unrolled: 1-line block ×7, first 2 shown]
	v_add_f64 v[79:80], v[30:31], v[18:19]
	v_add_f64 v[81:82], v[4:5], -v[32:33]
	v_add_f64 v[83:84], v[0:1], -v[45:46]
	v_add_f64 v[86:87], v[32:33], v[45:46]
	v_add_f64 v[88:89], v[6:7], -v[14:15]
	v_add_f64 v[90:91], v[12:13], -v[34:35]
	v_add_f64 v[14:15], v[2:3], v[14:15]
	v_add_f64 v[26:27], v[26:27], v[47:48]
	v_fma_f64 v[47:48], v[49:50], -0.5, v[22:23]
	v_add_f64 v[49:50], v[55:56], v[57:58]
	v_fma_f64 v[55:56], v[61:62], -0.5, v[24:25]
	v_fma_f64 v[61:62], v[69:70], -0.5, v[2:3]
	;; [unrolled: 1-line block ×3, first 2 shown]
	v_add_f64 v[51:52], v[28:29], -v[16:17]
	v_add_f64 v[53:54], v[36:37], -v[8:9]
	;; [unrolled: 1-line block ×3, first 2 shown]
	v_add_f64 v[94:95], v[22:23], v[30:31]
	v_add_f64 v[57:58], v[65:66], v[67:68]
	v_add_f64 v[65:66], v[75:76], v[77:78]
	v_fma_f64 v[22:23], v[79:80], -0.5, v[22:23]
	v_add_f64 v[67:68], v[81:82], v[83:84]
	v_fma_f64 v[69:70], v[86:87], -0.5, v[24:25]
	v_add_f64 v[75:76], v[88:89], v[90:91]
	v_fma_f64 v[81:82], v[71:72], s[2:3], v[61:62]
	v_fma_f64 v[88:89], v[73:74], s[16:17], v[2:3]
	v_add_f64 v[6:7], v[14:15], v[6:7]
	v_fma_f64 v[14:15], v[51:52], s[2:3], v[47:48]
	v_fma_f64 v[47:48], v[51:52], s[16:17], v[47:48]
	;; [unrolled: 1-line block ×10, first 2 shown]
	v_add_f64 v[96:97], v[36:37], v[8:9]
	v_add_f64 v[98:99], v[28:29], v[16:17]
	v_fma_f64 v[14:15], v[53:54], s[14:15], v[14:15]
	v_fma_f64 v[47:48], v[53:54], s[18:19], v[47:48]
	v_add_f64 v[12:13], v[6:7], v[12:13]
	v_add_f64 v[77:78], v[94:95], v[38:39]
	v_fma_f64 v[69:70], v[59:60], s[16:17], v[69:70]
	v_fma_f64 v[61:62], v[71:72], s[16:17], v[61:62]
	;; [unrolled: 1-line block ×11, first 2 shown]
	v_fma_f64 v[26:27], v[96:97], -0.5, v[20:21]
	v_add_f64 v[12:13], v[12:13], v[34:35]
	v_fma_f64 v[34:35], v[98:99], -0.5, v[20:21]
	v_add_f64 v[20:21], v[20:21], v[28:29]
	v_add_f64 v[24:25], v[24:25], v[32:33]
	;; [unrolled: 1-line block ×3, first 2 shown]
	v_fma_f64 v[83:84], v[51:52], s[14:15], v[83:84]
	v_fma_f64 v[51:52], v[63:64], s[14:15], v[69:70]
	;; [unrolled: 1-line block ×6, first 2 shown]
	v_mul_f64 v[75:76], v[81:82], s[22:23]
	v_fma_f64 v[49:50], v[49:50], s[8:9], v[55:56]
	v_fma_f64 v[55:56], v[65:66], s[8:9], v[22:23]
	v_add_f64 v[22:23], v[30:31], -v[18:19]
	v_add_f64 v[30:31], v[38:39], -v[10:11]
	v_add_f64 v[20:21], v[20:21], v[36:37]
	v_add_f64 v[4:5], v[24:25], v[4:5]
	v_mul_f64 v[2:3], v[71:72], s[20:21]
	v_fma_f64 v[79:80], v[65:66], s[8:9], v[83:84]
	v_fma_f64 v[57:58], v[57:58], s[8:9], v[61:62]
	;; [unrolled: 1-line block ×4, first 2 shown]
	v_add_f64 v[75:76], v[77:78], v[18:19]
	v_add_f64 v[38:39], v[28:29], -v[36:37]
	v_add_f64 v[77:78], v[16:17], -v[8:9]
	v_fma_f64 v[83:84], v[22:23], s[16:17], v[26:27]
	v_add_f64 v[86:87], v[36:37], -v[28:29]
	v_add_f64 v[88:89], v[8:9], -v[16:17]
	v_fma_f64 v[90:91], v[30:31], s[2:3], v[34:35]
	v_mul_f64 v[28:29], v[71:72], s[14:15]
	v_fma_f64 v[26:27], v[22:23], s[2:3], v[26:27]
	v_fma_f64 v[34:35], v[30:31], s[16:17], v[34:35]
	v_add_f64 v[8:9], v[20:21], v[8:9]
	v_add_f64 v[20:21], v[4:5], v[0:1]
	v_fma_f64 v[61:62], v[63:64], s[18:19], v[2:3]
	v_mul_f64 v[53:54], v[57:58], s[24:25]
	v_add_f64 v[38:39], v[38:39], v[77:78]
	v_add_f64 v[32:33], v[86:87], v[88:89]
	v_fma_f64 v[71:72], v[22:23], s[18:19], v[90:91]
	v_fma_f64 v[63:64], v[63:64], s[20:21], v[28:29]
	;; [unrolled: 1-line block ×3, first 2 shown]
	v_mul_f64 v[28:29], v[57:58], s[14:15]
	v_mul_f64 v[14:15], v[73:74], s[8:9]
	v_fma_f64 v[77:78], v[30:31], s[18:19], v[83:84]
	v_fma_f64 v[22:23], v[22:23], s[14:15], v[34:35]
	v_mul_f64 v[30:31], v[73:74], s[2:3]
	v_mul_f64 v[81:82], v[81:82], s[2:3]
	v_add_f64 v[8:9], v[8:9], v[16:17]
	v_add_f64 v[16:17], v[20:21], v[45:46]
	v_fma_f64 v[53:54], v[49:50], s[18:19], v[53:54]
	v_fma_f64 v[24:25], v[32:33], s[8:9], v[71:72]
	;; [unrolled: 1-line block ×9, first 2 shown]
	v_add_f64 v[38:39], v[75:76], v[12:13]
	v_add_f64 v[36:37], v[8:9], v[16:17]
	;; [unrolled: 1-line block ×6, first 2 shown]
	v_add_f64 v[4:5], v[24:25], -v[69:70]
	v_add_f64 v[26:27], v[79:80], v[67:68]
	v_add_f64 v[24:25], v[24:25], v[69:70]
	;; [unrolled: 1-line block ×4, first 2 shown]
	v_add_f64 v[18:19], v[75:76], -v[12:13]
	v_add_f64 v[16:17], v[8:9], -v[16:17]
	;; [unrolled: 1-line block ×9, first 2 shown]
	ds_write_b128 v85, v[36:39]
	ds_write_b128 v85, v[32:35] offset:1280
	ds_write_b128 v85, v[28:31] offset:2560
	;; [unrolled: 1-line block ×9, first 2 shown]
.LBB0_19:
	s_or_b64 exec, exec, s[6:7]
	s_waitcnt lgkmcnt(0)
	s_barrier
	ds_read_b128 v[4:7], v85
	s_add_u32 s8, s12, 0x3100
	v_lshlrev_b32_e32 v0, 4, v44
	s_addc_u32 s9, s13, 0
	v_sub_u32_e32 v12, 0, v0
	v_cmp_ne_u32_e64 s[2:3], 0, v44
                                        ; implicit-def: $vgpr2_vgpr3
                                        ; implicit-def: $vgpr8_vgpr9
                                        ; implicit-def: $vgpr10_vgpr11
	s_and_saveexec_b64 s[6:7], s[2:3]
	s_xor_b64 s[6:7], exec, s[6:7]
	s_cbranch_execz .LBB0_21
; %bb.20:
	v_mov_b32_e32 v45, 0
	v_lshlrev_b64 v[0:1], 4, v[44:45]
	v_mov_b32_e32 v2, s9
	v_add_co_u32_e64 v0, s[2:3], s8, v0
	v_addc_co_u32_e64 v1, s[2:3], v2, v1, s[2:3]
	global_load_dwordx4 v[0:3], v[0:1], off
	ds_read_b128 v[8:11], v12 offset:12800
	s_waitcnt lgkmcnt(0)
	v_add_f64 v[13:14], v[4:5], -v[8:9]
	v_add_f64 v[15:16], v[6:7], v[10:11]
	v_add_f64 v[6:7], v[6:7], -v[10:11]
	v_add_f64 v[4:5], v[4:5], v[8:9]
	v_mul_f64 v[10:11], v[13:14], 0.5
	v_mul_f64 v[13:14], v[15:16], 0.5
	;; [unrolled: 1-line block ×3, first 2 shown]
	s_waitcnt vmcnt(0)
	v_mul_f64 v[8:9], v[10:11], v[2:3]
	v_fma_f64 v[15:16], v[13:14], v[2:3], v[6:7]
	v_fma_f64 v[2:3], v[13:14], v[2:3], -v[6:7]
	v_fma_f64 v[17:18], v[4:5], 0.5, v[8:9]
	v_fma_f64 v[4:5], v[4:5], 0.5, -v[8:9]
	v_fma_f64 v[8:9], -v[0:1], v[10:11], v[15:16]
	v_fma_f64 v[2:3], -v[0:1], v[10:11], v[2:3]
	v_mov_b32_e32 v10, v44
	v_mov_b32_e32 v11, v45
	v_fma_f64 v[6:7], v[13:14], v[0:1], v[17:18]
	v_fma_f64 v[0:1], -v[13:14], v[0:1], v[4:5]
                                        ; implicit-def: $vgpr4_vgpr5
	ds_write_b64 v85, v[6:7]
.LBB0_21:
	s_andn2_saveexec_b64 s[2:3], s[6:7]
	s_cbranch_execz .LBB0_23
; %bb.22:
	s_waitcnt lgkmcnt(0)
	v_add_f64 v[2:3], v[4:5], v[6:7]
	v_mov_b32_e32 v15, 0
	ds_read_b64 v[13:14], v15 offset:6408
	v_add_f64 v[0:1], v[4:5], -v[6:7]
	v_mov_b32_e32 v8, 0
	v_mov_b32_e32 v10, 0
	;; [unrolled: 1-line block ×3, first 2 shown]
	s_waitcnt lgkmcnt(0)
	v_xor_b32_e32 v14, 0x80000000, v14
	ds_write_b64 v15, v[13:14] offset:6408
	ds_write_b64 v85, v[2:3]
	v_mov_b32_e32 v2, v8
	v_mov_b32_e32 v11, 0
	v_mov_b32_e32 v3, v9
.LBB0_23:
	s_or_b64 exec, exec, s[2:3]
	s_waitcnt lgkmcnt(0)
	v_lshlrev_b64 v[4:5], 4, v[10:11]
	v_mov_b32_e32 v6, s9
	v_add_co_u32_e64 v4, s[2:3], s8, v4
	v_addc_co_u32_e64 v5, s[2:3], v6, v5, s[2:3]
	global_load_dwordx4 v[13:16], v[4:5], off offset:2560
	ds_write_b64 v85, v[8:9] offset:8
	ds_write_b128 v12, v[0:3] offset:12800
	ds_read_b128 v[0:3], v85 offset:2560
	ds_read_b128 v[6:9], v12 offset:10240
	s_waitcnt lgkmcnt(0)
	v_add_f64 v[10:11], v[0:1], -v[6:7]
	v_add_f64 v[17:18], v[2:3], v[8:9]
	v_add_f64 v[2:3], v[2:3], -v[8:9]
	v_add_f64 v[0:1], v[0:1], v[6:7]
	v_mul_f64 v[8:9], v[10:11], 0.5
	v_mul_f64 v[10:11], v[17:18], 0.5
	;; [unrolled: 1-line block ×3, first 2 shown]
	s_waitcnt vmcnt(0)
	v_mul_f64 v[6:7], v[8:9], v[15:16]
	v_fma_f64 v[17:18], v[10:11], v[15:16], v[2:3]
	v_fma_f64 v[15:16], v[10:11], v[15:16], -v[2:3]
	v_fma_f64 v[19:20], v[0:1], 0.5, v[6:7]
	v_fma_f64 v[6:7], v[0:1], 0.5, -v[6:7]
	v_fma_f64 v[2:3], -v[13:14], v[8:9], v[17:18]
	v_fma_f64 v[8:9], -v[13:14], v[8:9], v[15:16]
	v_fma_f64 v[0:1], v[10:11], v[13:14], v[19:20]
	v_fma_f64 v[6:7], -v[10:11], v[13:14], v[6:7]
	ds_write_b128 v85, v[0:3] offset:2560
	ds_write_b128 v12, v[6:9] offset:10240
	s_and_saveexec_b64 s[2:3], vcc
	s_cbranch_execz .LBB0_25
; %bb.24:
	s_movk_i32 s6, 0x1000
	v_add_co_u32_e32 v0, vcc, s6, v4
	v_addc_co_u32_e32 v1, vcc, 0, v5, vcc
	global_load_dwordx4 v[0:3], v[0:1], off offset:1024
	ds_read_b128 v[4:7], v85 offset:5120
	ds_read_b128 v[8:11], v12 offset:7680
	s_waitcnt lgkmcnt(0)
	v_add_f64 v[13:14], v[4:5], -v[8:9]
	v_add_f64 v[15:16], v[6:7], v[10:11]
	v_add_f64 v[6:7], v[6:7], -v[10:11]
	v_add_f64 v[4:5], v[4:5], v[8:9]
	v_mul_f64 v[10:11], v[13:14], 0.5
	v_mul_f64 v[13:14], v[15:16], 0.5
	;; [unrolled: 1-line block ×3, first 2 shown]
	s_waitcnt vmcnt(0)
	v_mul_f64 v[8:9], v[10:11], v[2:3]
	v_fma_f64 v[15:16], v[13:14], v[2:3], v[6:7]
	v_fma_f64 v[2:3], v[13:14], v[2:3], -v[6:7]
	v_fma_f64 v[6:7], v[4:5], 0.5, v[8:9]
	v_fma_f64 v[17:18], v[4:5], 0.5, -v[8:9]
	v_fma_f64 v[4:5], -v[0:1], v[10:11], v[15:16]
	v_fma_f64 v[8:9], -v[0:1], v[10:11], v[2:3]
	v_fma_f64 v[2:3], v[13:14], v[0:1], v[6:7]
	v_fma_f64 v[6:7], -v[13:14], v[0:1], v[17:18]
	ds_write_b128 v85, v[2:5] offset:5120
	ds_write_b128 v12, v[6:9] offset:7680
.LBB0_25:
	s_or_b64 exec, exec, s[2:3]
	s_waitcnt lgkmcnt(0)
	s_barrier
	s_and_saveexec_b64 s[2:3], s[0:1]
	s_cbranch_execz .LBB0_28
; %bb.26:
	v_mul_lo_u32 v2, s5, v42
	v_mul_lo_u32 v3, s4, v43
	v_mad_u64_u32 v[0:1], s[0:1], s4, v42, 0
	v_mov_b32_e32 v6, s11
	v_lshl_add_u32 v12, v44, 4, 0
	v_add3_u32 v1, v1, v3, v2
	v_lshlrev_b64 v[0:1], 4, v[0:1]
	v_mov_b32_e32 v45, 0
	v_add_co_u32_e32 v0, vcc, s10, v0
	v_addc_co_u32_e32 v8, vcc, v6, v1, vcc
	v_lshlrev_b64 v[6:7], 4, v[40:41]
	ds_read_b128 v[2:5], v12
	v_add_co_u32_e32 v1, vcc, v0, v6
	v_addc_co_u32_e32 v0, vcc, v8, v7, vcc
	v_lshlrev_b64 v[6:7], 4, v[44:45]
	s_movk_i32 s0, 0x9f
	v_add_co_u32_e32 v10, vcc, v1, v6
	v_addc_co_u32_e32 v11, vcc, v0, v7, vcc
	ds_read_b128 v[6:9], v12 offset:2560
	s_waitcnt lgkmcnt(1)
	global_store_dwordx4 v[10:11], v[2:5], off
	s_nop 0
	v_add_u32_e32 v2, 0xa0, v44
	v_mov_b32_e32 v3, v45
	v_lshlrev_b64 v[2:3], 4, v[2:3]
	v_add_co_u32_e32 v2, vcc, v1, v2
	v_addc_co_u32_e32 v3, vcc, v0, v3, vcc
	s_waitcnt lgkmcnt(0)
	global_store_dwordx4 v[2:3], v[6:9], off
	ds_read_b128 v[2:5], v12 offset:5120
	v_add_u32_e32 v6, 0x140, v44
	v_mov_b32_e32 v7, v45
	v_lshlrev_b64 v[6:7], 4, v[6:7]
	v_add_co_u32_e32 v10, vcc, v1, v6
	v_addc_co_u32_e32 v11, vcc, v0, v7, vcc
	ds_read_b128 v[6:9], v12 offset:7680
	s_waitcnt lgkmcnt(1)
	global_store_dwordx4 v[10:11], v[2:5], off
	s_nop 0
	v_add_u32_e32 v2, 0x1e0, v44
	v_mov_b32_e32 v3, v45
	v_lshlrev_b64 v[2:3], 4, v[2:3]
	v_add_co_u32_e32 v2, vcc, v1, v2
	v_addc_co_u32_e32 v3, vcc, v0, v3, vcc
	s_waitcnt lgkmcnt(0)
	global_store_dwordx4 v[2:3], v[6:9], off
	ds_read_b128 v[2:5], v12 offset:10240
	v_add_u32_e32 v6, 0x280, v44
	v_mov_b32_e32 v7, v45
	v_lshlrev_b64 v[6:7], 4, v[6:7]
	v_add_co_u32_e32 v6, vcc, v1, v6
	v_addc_co_u32_e32 v7, vcc, v0, v7, vcc
	v_cmp_eq_u32_e32 vcc, s0, v44
	s_waitcnt lgkmcnt(0)
	global_store_dwordx4 v[6:7], v[2:5], off
	s_and_b64 exec, exec, vcc
	s_cbranch_execz .LBB0_28
; %bb.27:
	ds_read_b128 v[2:5], v45 offset:12800
	v_add_co_u32_e32 v6, vcc, 0x3000, v1
	v_addc_co_u32_e32 v7, vcc, 0, v0, vcc
	s_waitcnt lgkmcnt(0)
	global_store_dwordx4 v[6:7], v[2:5], off offset:512
.LBB0_28:
	s_endpgm
	.section	.rodata,"a",@progbits
	.p2align	6, 0x0
	.amdhsa_kernel fft_rtc_back_len800_factors_16_5_10_wgs_160_tpt_160_halfLds_dp_op_CI_CI_unitstride_sbrr_R2C_dirReg
		.amdhsa_group_segment_fixed_size 0
		.amdhsa_private_segment_fixed_size 0
		.amdhsa_kernarg_size 104
		.amdhsa_user_sgpr_count 6
		.amdhsa_user_sgpr_private_segment_buffer 1
		.amdhsa_user_sgpr_dispatch_ptr 0
		.amdhsa_user_sgpr_queue_ptr 0
		.amdhsa_user_sgpr_kernarg_segment_ptr 1
		.amdhsa_user_sgpr_dispatch_id 0
		.amdhsa_user_sgpr_flat_scratch_init 0
		.amdhsa_user_sgpr_private_segment_size 0
		.amdhsa_uses_dynamic_stack 0
		.amdhsa_system_sgpr_private_segment_wavefront_offset 0
		.amdhsa_system_sgpr_workgroup_id_x 1
		.amdhsa_system_sgpr_workgroup_id_y 0
		.amdhsa_system_sgpr_workgroup_id_z 0
		.amdhsa_system_sgpr_workgroup_info 0
		.amdhsa_system_vgpr_workitem_id 0
		.amdhsa_next_free_vgpr 100
		.amdhsa_next_free_sgpr 28
		.amdhsa_reserve_vcc 1
		.amdhsa_reserve_flat_scratch 0
		.amdhsa_float_round_mode_32 0
		.amdhsa_float_round_mode_16_64 0
		.amdhsa_float_denorm_mode_32 3
		.amdhsa_float_denorm_mode_16_64 3
		.amdhsa_dx10_clamp 1
		.amdhsa_ieee_mode 1
		.amdhsa_fp16_overflow 0
		.amdhsa_exception_fp_ieee_invalid_op 0
		.amdhsa_exception_fp_denorm_src 0
		.amdhsa_exception_fp_ieee_div_zero 0
		.amdhsa_exception_fp_ieee_overflow 0
		.amdhsa_exception_fp_ieee_underflow 0
		.amdhsa_exception_fp_ieee_inexact 0
		.amdhsa_exception_int_div_zero 0
	.end_amdhsa_kernel
	.text
.Lfunc_end0:
	.size	fft_rtc_back_len800_factors_16_5_10_wgs_160_tpt_160_halfLds_dp_op_CI_CI_unitstride_sbrr_R2C_dirReg, .Lfunc_end0-fft_rtc_back_len800_factors_16_5_10_wgs_160_tpt_160_halfLds_dp_op_CI_CI_unitstride_sbrr_R2C_dirReg
                                        ; -- End function
	.section	.AMDGPU.csdata,"",@progbits
; Kernel info:
; codeLenInByte = 6936
; NumSgprs: 32
; NumVgprs: 100
; ScratchSize: 0
; MemoryBound: 0
; FloatMode: 240
; IeeeMode: 1
; LDSByteSize: 0 bytes/workgroup (compile time only)
; SGPRBlocks: 3
; VGPRBlocks: 24
; NumSGPRsForWavesPerEU: 32
; NumVGPRsForWavesPerEU: 100
; Occupancy: 2
; WaveLimiterHint : 1
; COMPUTE_PGM_RSRC2:SCRATCH_EN: 0
; COMPUTE_PGM_RSRC2:USER_SGPR: 6
; COMPUTE_PGM_RSRC2:TRAP_HANDLER: 0
; COMPUTE_PGM_RSRC2:TGID_X_EN: 1
; COMPUTE_PGM_RSRC2:TGID_Y_EN: 0
; COMPUTE_PGM_RSRC2:TGID_Z_EN: 0
; COMPUTE_PGM_RSRC2:TIDIG_COMP_CNT: 0
	.type	__hip_cuid_c4c52ea86f29847d,@object ; @__hip_cuid_c4c52ea86f29847d
	.section	.bss,"aw",@nobits
	.globl	__hip_cuid_c4c52ea86f29847d
__hip_cuid_c4c52ea86f29847d:
	.byte	0                               ; 0x0
	.size	__hip_cuid_c4c52ea86f29847d, 1

	.ident	"AMD clang version 19.0.0git (https://github.com/RadeonOpenCompute/llvm-project roc-6.4.0 25133 c7fe45cf4b819c5991fe208aaa96edf142730f1d)"
	.section	".note.GNU-stack","",@progbits
	.addrsig
	.addrsig_sym __hip_cuid_c4c52ea86f29847d
	.amdgpu_metadata
---
amdhsa.kernels:
  - .args:
      - .actual_access:  read_only
        .address_space:  global
        .offset:         0
        .size:           8
        .value_kind:     global_buffer
      - .offset:         8
        .size:           8
        .value_kind:     by_value
      - .actual_access:  read_only
        .address_space:  global
        .offset:         16
        .size:           8
        .value_kind:     global_buffer
      - .actual_access:  read_only
        .address_space:  global
        .offset:         24
        .size:           8
        .value_kind:     global_buffer
      - .actual_access:  read_only
        .address_space:  global
        .offset:         32
        .size:           8
        .value_kind:     global_buffer
      - .offset:         40
        .size:           8
        .value_kind:     by_value
      - .actual_access:  read_only
        .address_space:  global
        .offset:         48
        .size:           8
        .value_kind:     global_buffer
      - .actual_access:  read_only
        .address_space:  global
        .offset:         56
        .size:           8
        .value_kind:     global_buffer
      - .offset:         64
        .size:           4
        .value_kind:     by_value
      - .actual_access:  read_only
        .address_space:  global
        .offset:         72
        .size:           8
        .value_kind:     global_buffer
      - .actual_access:  read_only
        .address_space:  global
        .offset:         80
        .size:           8
        .value_kind:     global_buffer
      - .actual_access:  read_only
        .address_space:  global
        .offset:         88
        .size:           8
        .value_kind:     global_buffer
      - .actual_access:  write_only
        .address_space:  global
        .offset:         96
        .size:           8
        .value_kind:     global_buffer
    .group_segment_fixed_size: 0
    .kernarg_segment_align: 8
    .kernarg_segment_size: 104
    .language:       OpenCL C
    .language_version:
      - 2
      - 0
    .max_flat_workgroup_size: 160
    .name:           fft_rtc_back_len800_factors_16_5_10_wgs_160_tpt_160_halfLds_dp_op_CI_CI_unitstride_sbrr_R2C_dirReg
    .private_segment_fixed_size: 0
    .sgpr_count:     32
    .sgpr_spill_count: 0
    .symbol:         fft_rtc_back_len800_factors_16_5_10_wgs_160_tpt_160_halfLds_dp_op_CI_CI_unitstride_sbrr_R2C_dirReg.kd
    .uniform_work_group_size: 1
    .uses_dynamic_stack: false
    .vgpr_count:     100
    .vgpr_spill_count: 0
    .wavefront_size: 64
amdhsa.target:   amdgcn-amd-amdhsa--gfx906
amdhsa.version:
  - 1
  - 2
...

	.end_amdgpu_metadata
